;; amdgpu-corpus repo=ROCm/rocFFT kind=compiled arch=gfx1030 opt=O3
	.text
	.amdgcn_target "amdgcn-amd-amdhsa--gfx1030"
	.amdhsa_code_object_version 6
	.protected	fft_rtc_fwd_len1215_factors_5_3_3_3_3_3_wgs_243_tpt_243_halfLds_dp_op_CI_CI_unitstride_sbrr_dirReg ; -- Begin function fft_rtc_fwd_len1215_factors_5_3_3_3_3_3_wgs_243_tpt_243_halfLds_dp_op_CI_CI_unitstride_sbrr_dirReg
	.globl	fft_rtc_fwd_len1215_factors_5_3_3_3_3_3_wgs_243_tpt_243_halfLds_dp_op_CI_CI_unitstride_sbrr_dirReg
	.p2align	8
	.type	fft_rtc_fwd_len1215_factors_5_3_3_3_3_3_wgs_243_tpt_243_halfLds_dp_op_CI_CI_unitstride_sbrr_dirReg,@function
fft_rtc_fwd_len1215_factors_5_3_3_3_3_3_wgs_243_tpt_243_halfLds_dp_op_CI_CI_unitstride_sbrr_dirReg: ; @fft_rtc_fwd_len1215_factors_5_3_3_3_3_3_wgs_243_tpt_243_halfLds_dp_op_CI_CI_unitstride_sbrr_dirReg
; %bb.0:
	s_clause 0x2
	s_load_dwordx4 s[8:11], s[4:5], 0x0
	s_load_dwordx4 s[12:15], s[4:5], 0x58
	;; [unrolled: 1-line block ×3, first 2 shown]
	v_mul_u32_u24_e32 v2, 0x10e, v0
	v_mov_b32_e32 v1, 0
	v_mov_b32_e32 v4, 0
	;; [unrolled: 1-line block ×3, first 2 shown]
	v_add_nc_u32_sdwa v6, s6, v2 dst_sel:DWORD dst_unused:UNUSED_PAD src0_sel:DWORD src1_sel:WORD_1
	v_mov_b32_e32 v7, v1
	s_waitcnt lgkmcnt(0)
	v_cmp_lt_u64_e64 s0, s[10:11], 2
	s_and_b32 vcc_lo, exec_lo, s0
	s_cbranch_vccnz .LBB0_8
; %bb.1:
	s_load_dwordx2 s[0:1], s[4:5], 0x10
	v_mov_b32_e32 v4, 0
	v_mov_b32_e32 v5, 0
	s_add_u32 s2, s18, 8
	s_addc_u32 s3, s19, 0
	s_add_u32 s6, s16, 8
	s_addc_u32 s7, s17, 0
	v_mov_b32_e32 v21, v5
	v_mov_b32_e32 v20, v4
	s_mov_b64 s[22:23], 1
	s_waitcnt lgkmcnt(0)
	s_add_u32 s20, s0, 8
	s_addc_u32 s21, s1, 0
.LBB0_2:                                ; =>This Inner Loop Header: Depth=1
	s_load_dwordx2 s[24:25], s[20:21], 0x0
                                        ; implicit-def: $vgpr22_vgpr23
	s_mov_b32 s0, exec_lo
	s_waitcnt lgkmcnt(0)
	v_or_b32_e32 v2, s25, v7
	v_cmpx_ne_u64_e32 0, v[1:2]
	s_xor_b32 s1, exec_lo, s0
	s_cbranch_execz .LBB0_4
; %bb.3:                                ;   in Loop: Header=BB0_2 Depth=1
	v_cvt_f32_u32_e32 v2, s24
	v_cvt_f32_u32_e32 v3, s25
	s_sub_u32 s0, 0, s24
	s_subb_u32 s26, 0, s25
	v_fmac_f32_e32 v2, 0x4f800000, v3
	v_rcp_f32_e32 v2, v2
	v_mul_f32_e32 v2, 0x5f7ffffc, v2
	v_mul_f32_e32 v3, 0x2f800000, v2
	v_trunc_f32_e32 v3, v3
	v_fmac_f32_e32 v2, 0xcf800000, v3
	v_cvt_u32_f32_e32 v3, v3
	v_cvt_u32_f32_e32 v2, v2
	v_mul_lo_u32 v8, s0, v3
	v_mul_hi_u32 v9, s0, v2
	v_mul_lo_u32 v10, s26, v2
	v_add_nc_u32_e32 v8, v9, v8
	v_mul_lo_u32 v9, s0, v2
	v_add_nc_u32_e32 v8, v8, v10
	v_mul_hi_u32 v10, v2, v9
	v_mul_lo_u32 v11, v2, v8
	v_mul_hi_u32 v12, v2, v8
	v_mul_hi_u32 v13, v3, v9
	v_mul_lo_u32 v9, v3, v9
	v_mul_hi_u32 v14, v3, v8
	v_mul_lo_u32 v8, v3, v8
	v_add_co_u32 v10, vcc_lo, v10, v11
	v_add_co_ci_u32_e32 v11, vcc_lo, 0, v12, vcc_lo
	v_add_co_u32 v9, vcc_lo, v10, v9
	v_add_co_ci_u32_e32 v9, vcc_lo, v11, v13, vcc_lo
	v_add_co_ci_u32_e32 v10, vcc_lo, 0, v14, vcc_lo
	v_add_co_u32 v8, vcc_lo, v9, v8
	v_add_co_ci_u32_e32 v9, vcc_lo, 0, v10, vcc_lo
	v_add_co_u32 v2, vcc_lo, v2, v8
	v_add_co_ci_u32_e32 v3, vcc_lo, v3, v9, vcc_lo
	v_mul_hi_u32 v8, s0, v2
	v_mul_lo_u32 v10, s26, v2
	v_mul_lo_u32 v9, s0, v3
	v_add_nc_u32_e32 v8, v8, v9
	v_mul_lo_u32 v9, s0, v2
	v_add_nc_u32_e32 v8, v8, v10
	v_mul_hi_u32 v10, v2, v9
	v_mul_lo_u32 v11, v2, v8
	v_mul_hi_u32 v12, v2, v8
	v_mul_hi_u32 v13, v3, v9
	v_mul_lo_u32 v9, v3, v9
	v_mul_hi_u32 v14, v3, v8
	v_mul_lo_u32 v8, v3, v8
	v_add_co_u32 v10, vcc_lo, v10, v11
	v_add_co_ci_u32_e32 v11, vcc_lo, 0, v12, vcc_lo
	v_add_co_u32 v9, vcc_lo, v10, v9
	v_add_co_ci_u32_e32 v9, vcc_lo, v11, v13, vcc_lo
	v_add_co_ci_u32_e32 v10, vcc_lo, 0, v14, vcc_lo
	v_add_co_u32 v8, vcc_lo, v9, v8
	v_add_co_ci_u32_e32 v9, vcc_lo, 0, v10, vcc_lo
	v_add_co_u32 v8, vcc_lo, v2, v8
	v_add_co_ci_u32_e32 v10, vcc_lo, v3, v9, vcc_lo
	v_mul_hi_u32 v12, v6, v8
	v_mad_u64_u32 v[8:9], null, v7, v8, 0
	v_mad_u64_u32 v[2:3], null, v6, v10, 0
	;; [unrolled: 1-line block ×3, first 2 shown]
	v_add_co_u32 v2, vcc_lo, v12, v2
	v_add_co_ci_u32_e32 v3, vcc_lo, 0, v3, vcc_lo
	v_add_co_u32 v2, vcc_lo, v2, v8
	v_add_co_ci_u32_e32 v2, vcc_lo, v3, v9, vcc_lo
	v_add_co_ci_u32_e32 v3, vcc_lo, 0, v11, vcc_lo
	v_add_co_u32 v8, vcc_lo, v2, v10
	v_add_co_ci_u32_e32 v9, vcc_lo, 0, v3, vcc_lo
	v_mul_lo_u32 v10, s25, v8
	v_mad_u64_u32 v[2:3], null, s24, v8, 0
	v_mul_lo_u32 v11, s24, v9
	v_sub_co_u32 v2, vcc_lo, v6, v2
	v_add3_u32 v3, v3, v11, v10
	v_sub_nc_u32_e32 v10, v7, v3
	v_subrev_co_ci_u32_e64 v10, s0, s25, v10, vcc_lo
	v_add_co_u32 v11, s0, v8, 2
	v_add_co_ci_u32_e64 v12, s0, 0, v9, s0
	v_sub_co_u32 v13, s0, v2, s24
	v_sub_co_ci_u32_e32 v3, vcc_lo, v7, v3, vcc_lo
	v_subrev_co_ci_u32_e64 v10, s0, 0, v10, s0
	v_cmp_le_u32_e32 vcc_lo, s24, v13
	v_cmp_eq_u32_e64 s0, s25, v3
	v_cndmask_b32_e64 v13, 0, -1, vcc_lo
	v_cmp_le_u32_e32 vcc_lo, s25, v10
	v_cndmask_b32_e64 v14, 0, -1, vcc_lo
	v_cmp_le_u32_e32 vcc_lo, s24, v2
	;; [unrolled: 2-line block ×3, first 2 shown]
	v_cndmask_b32_e64 v15, 0, -1, vcc_lo
	v_cmp_eq_u32_e32 vcc_lo, s25, v10
	v_cndmask_b32_e64 v2, v15, v2, s0
	v_cndmask_b32_e32 v10, v14, v13, vcc_lo
	v_add_co_u32 v13, vcc_lo, v8, 1
	v_add_co_ci_u32_e32 v14, vcc_lo, 0, v9, vcc_lo
	v_cmp_ne_u32_e32 vcc_lo, 0, v10
	v_cndmask_b32_e32 v3, v14, v12, vcc_lo
	v_cndmask_b32_e32 v10, v13, v11, vcc_lo
	v_cmp_ne_u32_e32 vcc_lo, 0, v2
	v_cndmask_b32_e32 v23, v9, v3, vcc_lo
	v_cndmask_b32_e32 v22, v8, v10, vcc_lo
.LBB0_4:                                ;   in Loop: Header=BB0_2 Depth=1
	s_andn2_saveexec_b32 s0, s1
	s_cbranch_execz .LBB0_6
; %bb.5:                                ;   in Loop: Header=BB0_2 Depth=1
	v_cvt_f32_u32_e32 v2, s24
	s_sub_i32 s1, 0, s24
	v_mov_b32_e32 v23, v1
	v_rcp_iflag_f32_e32 v2, v2
	v_mul_f32_e32 v2, 0x4f7ffffe, v2
	v_cvt_u32_f32_e32 v2, v2
	v_mul_lo_u32 v3, s1, v2
	v_mul_hi_u32 v3, v2, v3
	v_add_nc_u32_e32 v2, v2, v3
	v_mul_hi_u32 v2, v6, v2
	v_mul_lo_u32 v3, v2, s24
	v_add_nc_u32_e32 v8, 1, v2
	v_sub_nc_u32_e32 v3, v6, v3
	v_subrev_nc_u32_e32 v9, s24, v3
	v_cmp_le_u32_e32 vcc_lo, s24, v3
	v_cndmask_b32_e32 v3, v3, v9, vcc_lo
	v_cndmask_b32_e32 v2, v2, v8, vcc_lo
	v_cmp_le_u32_e32 vcc_lo, s24, v3
	v_add_nc_u32_e32 v8, 1, v2
	v_cndmask_b32_e32 v22, v2, v8, vcc_lo
.LBB0_6:                                ;   in Loop: Header=BB0_2 Depth=1
	s_or_b32 exec_lo, exec_lo, s0
	v_mul_lo_u32 v8, v23, s24
	v_mul_lo_u32 v9, v22, s25
	s_load_dwordx2 s[0:1], s[6:7], 0x0
	v_mad_u64_u32 v[2:3], null, v22, s24, 0
	s_load_dwordx2 s[24:25], s[2:3], 0x0
	s_add_u32 s22, s22, 1
	s_addc_u32 s23, s23, 0
	s_add_u32 s2, s2, 8
	s_addc_u32 s3, s3, 0
	s_add_u32 s6, s6, 8
	v_add3_u32 v3, v3, v9, v8
	v_sub_co_u32 v2, vcc_lo, v6, v2
	s_addc_u32 s7, s7, 0
	s_add_u32 s20, s20, 8
	v_sub_co_ci_u32_e32 v3, vcc_lo, v7, v3, vcc_lo
	s_addc_u32 s21, s21, 0
	s_waitcnt lgkmcnt(0)
	v_mul_lo_u32 v6, s0, v3
	v_mul_lo_u32 v7, s1, v2
	v_mad_u64_u32 v[4:5], null, s0, v2, v[4:5]
	v_mul_lo_u32 v3, s24, v3
	v_mul_lo_u32 v8, s25, v2
	v_mad_u64_u32 v[20:21], null, s24, v2, v[20:21]
	v_cmp_ge_u64_e64 s0, s[22:23], s[10:11]
	v_add3_u32 v5, v7, v5, v6
	v_add3_u32 v21, v8, v21, v3
	s_and_b32 vcc_lo, exec_lo, s0
	s_cbranch_vccnz .LBB0_9
; %bb.7:                                ;   in Loop: Header=BB0_2 Depth=1
	v_mov_b32_e32 v6, v22
	v_mov_b32_e32 v7, v23
	s_branch .LBB0_2
.LBB0_8:
	v_mov_b32_e32 v21, v5
	v_mov_b32_e32 v23, v7
	;; [unrolled: 1-line block ×4, first 2 shown]
.LBB0_9:
	s_load_dwordx2 s[0:1], s[4:5], 0x28
	v_mul_hi_u32 v1, 0x10db20b, v0
	s_lshl_b64 s[4:5], s[10:11], 3
                                        ; implicit-def: $vgpr40
	s_add_u32 s2, s18, s4
	s_addc_u32 s3, s19, s5
	s_waitcnt lgkmcnt(0)
	v_cmp_gt_u64_e32 vcc_lo, s[0:1], v[22:23]
	v_cmp_le_u64_e64 s0, s[0:1], v[22:23]
	s_and_saveexec_b32 s1, s0
	s_xor_b32 s0, exec_lo, s1
; %bb.10:
	v_mul_u32_u24_e32 v1, 0xf3, v1
                                        ; implicit-def: $vgpr4_vgpr5
	v_sub_nc_u32_e32 v40, v0, v1
                                        ; implicit-def: $vgpr1
                                        ; implicit-def: $vgpr0
; %bb.11:
	s_or_saveexec_b32 s1, s0
                                        ; implicit-def: $vgpr2_vgpr3
                                        ; implicit-def: $vgpr6_vgpr7
                                        ; implicit-def: $vgpr10_vgpr11
                                        ; implicit-def: $vgpr14_vgpr15
                                        ; implicit-def: $vgpr18_vgpr19
	s_xor_b32 exec_lo, exec_lo, s1
	s_cbranch_execz .LBB0_13
; %bb.12:
	s_add_u32 s4, s16, s4
	s_addc_u32 s5, s17, s5
	s_load_dwordx2 s[4:5], s[4:5], 0x0
	s_waitcnt lgkmcnt(0)
	v_mul_lo_u32 v6, s5, v22
	v_mul_lo_u32 v7, s4, v23
	v_mad_u64_u32 v[2:3], null, s4, v22, 0
	v_add3_u32 v3, v3, v7, v6
	v_mul_u32_u24_e32 v6, 0xf3, v1
	v_lshlrev_b64 v[1:2], 4, v[2:3]
	v_lshlrev_b64 v[3:4], 4, v[4:5]
	v_sub_nc_u32_e32 v40, v0, v6
	v_add_co_u32 v0, s0, s12, v1
	v_add_co_ci_u32_e64 v1, s0, s13, v2, s0
	v_lshlrev_b32_e32 v2, 4, v40
	v_add_co_u32 v0, s0, v0, v3
	v_add_co_ci_u32_e64 v1, s0, v1, v4, s0
	v_add_co_u32 v0, s0, v0, v2
	v_add_co_ci_u32_e64 v1, s0, 0, v1, s0
	v_add_co_u32 v2, s0, 0x800, v0
	v_add_co_ci_u32_e64 v3, s0, 0, v1, s0
	v_add_co_u32 v4, s0, 0x1800, v0
	v_add_co_ci_u32_e64 v5, s0, 0, v1, s0
	v_add_co_u32 v6, s0, 0x2800, v0
	v_add_co_ci_u32_e64 v7, s0, 0, v1, s0
	v_add_co_u32 v24, s0, 0x3800, v0
	v_add_co_ci_u32_e64 v25, s0, 0, v1, s0
	s_clause 0x4
	global_load_dwordx4 v[16:19], v[0:1], off
	global_load_dwordx4 v[12:15], v[2:3], off offset:1840
	global_load_dwordx4 v[8:11], v[4:5], off offset:1632
	;; [unrolled: 1-line block ×4, first 2 shown]
.LBB0_13:
	s_or_b32 exec_lo, exec_lo, s1
	s_waitcnt vmcnt(1)
	v_add_f64 v[24:25], v[4:5], v[8:9]
	s_waitcnt vmcnt(0)
	v_add_f64 v[26:27], v[0:1], v[12:13]
	v_add_f64 v[28:29], v[12:13], v[16:17]
	v_add_f64 v[30:31], v[14:15], -v[2:3]
	v_add_f64 v[32:33], v[10:11], -v[6:7]
	s_mov_b32 s4, 0x134454ff
	s_mov_b32 s5, 0x3fee6f0e
	;; [unrolled: 1-line block ×4, first 2 shown]
	v_add_f64 v[34:35], v[0:1], -v[4:5]
	v_add_f64 v[36:37], v[8:9], -v[12:13]
	;; [unrolled: 1-line block ×3, first 2 shown]
	s_mov_b32 s10, 0x4755a5e
	s_mov_b32 s11, 0x3fe2cf23
	;; [unrolled: 1-line block ×6, first 2 shown]
	s_load_dwordx2 s[2:3], s[2:3], 0x0
	v_cmp_gt_u32_e64 s0, 0xa2, v40
	v_fma_f64 v[24:25], v[24:25], -0.5, v[16:17]
	v_fma_f64 v[16:17], v[26:27], -0.5, v[16:17]
	v_add_f64 v[26:27], v[12:13], -v[8:9]
	v_add_f64 v[28:29], v[8:9], v[28:29]
	v_fma_f64 v[41:42], v[30:31], s[4:5], v[24:25]
	v_fma_f64 v[43:44], v[32:33], s[6:7], v[16:17]
	;; [unrolled: 1-line block ×4, first 2 shown]
	v_add_f64 v[26:27], v[34:35], v[26:27]
	v_add_f64 v[34:35], v[38:39], v[36:37]
	;; [unrolled: 1-line block ×3, first 2 shown]
	v_fma_f64 v[36:37], v[32:33], s[10:11], v[41:42]
	v_fma_f64 v[38:39], v[30:31], s[10:11], v[43:44]
	;; [unrolled: 1-line block ×4, first 2 shown]
	v_add_f64 v[28:29], v[0:1], v[28:29]
	v_fma_f64 v[30:31], v[26:27], s[16:17], v[36:37]
	v_fma_f64 v[32:33], v[34:35], s[16:17], v[38:39]
	;; [unrolled: 1-line block ×4, first 2 shown]
	v_mad_u32_u24 v34, v40, 40, 0
	v_lshlrev_b32_e32 v35, 5, v40
	ds_write2_b64 v34, v[28:29], v[30:31] offset1:1
	ds_write2_b64 v34, v[32:33], v[16:17] offset0:2 offset1:3
	ds_write_b64 v34, v[26:27] offset:32
	v_sub_nc_u32_e32 v36, v34, v35
	s_waitcnt lgkmcnt(0)
	s_barrier
	buffer_gl0_inv
	ds_read_b64 v[24:25], v36
	ds_read_b64 v[28:29], v36 offset:3240
	ds_read_b64 v[30:31], v36 offset:6480
	v_sub_nc_u32_e32 v32, 0, v35
	v_add_nc_u32_e32 v42, v34, v32
                                        ; implicit-def: $vgpr32_vgpr33
	s_and_saveexec_b32 s1, s0
	s_cbranch_execz .LBB0_15
; %bb.14:
	ds_read_b64 v[16:17], v42 offset:1944
	ds_read_b64 v[26:27], v42 offset:5184
	;; [unrolled: 1-line block ×3, first 2 shown]
.LBB0_15:
	s_or_b32 exec_lo, exec_lo, s1
	v_add_f64 v[35:36], v[6:7], v[10:11]
	v_add_f64 v[37:38], v[2:3], v[14:15]
	v_add_f64 v[43:44], v[14:15], v[18:19]
	v_add_f64 v[0:1], v[12:13], -v[0:1]
	v_add_f64 v[4:5], v[8:9], -v[4:5]
	s_waitcnt lgkmcnt(0)
	s_barrier
	buffer_gl0_inv
	v_fma_f64 v[8:9], v[35:36], -0.5, v[18:19]
	v_fma_f64 v[12:13], v[37:38], -0.5, v[18:19]
	v_add_f64 v[18:19], v[14:15], -v[10:11]
	v_add_f64 v[35:36], v[2:3], -v[6:7]
	;; [unrolled: 1-line block ×3, first 2 shown]
	v_add_f64 v[10:11], v[10:11], v[43:44]
	v_add_f64 v[37:38], v[6:7], -v[2:3]
	v_fma_f64 v[43:44], v[0:1], s[6:7], v[8:9]
	v_fma_f64 v[45:46], v[4:5], s[4:5], v[12:13]
	;; [unrolled: 1-line block ×4, first 2 shown]
	v_add_f64 v[18:19], v[35:36], v[18:19]
	v_add_f64 v[6:7], v[6:7], v[10:11]
	;; [unrolled: 1-line block ×3, first 2 shown]
	v_fma_f64 v[10:11], v[4:5], s[12:13], v[43:44]
	v_fma_f64 v[35:36], v[0:1], s[12:13], v[45:46]
	;; [unrolled: 1-line block ×4, first 2 shown]
	v_add_f64 v[6:7], v[2:3], v[6:7]
	v_fma_f64 v[8:9], v[18:19], s[16:17], v[10:11]
	v_fma_f64 v[10:11], v[14:15], s[16:17], v[35:36]
	;; [unrolled: 1-line block ×4, first 2 shown]
	ds_write2_b64 v34, v[6:7], v[8:9] offset1:1
	ds_write2_b64 v34, v[10:11], v[2:3] offset0:2 offset1:3
	ds_write_b64 v34, v[0:1] offset:32
	s_waitcnt lgkmcnt(0)
	s_barrier
	buffer_gl0_inv
	ds_read_b64 v[4:5], v42
	ds_read_b64 v[8:9], v42 offset:3240
	ds_read_b64 v[10:11], v42 offset:6480
                                        ; implicit-def: $vgpr6_vgpr7
	s_and_saveexec_b32 s1, s0
	s_cbranch_execz .LBB0_17
; %bb.16:
	ds_read_b64 v[2:3], v42 offset:1944
	ds_read_b64 v[0:1], v42 offset:5184
	ds_read_b64 v[6:7], v42 offset:8424
.LBB0_17:
	s_or_b32 exec_lo, exec_lo, s1
	v_and_b32_e32 v44, 0xff, v40
	v_add_nc_u32_e32 v41, 0xf3, v40
	v_mov_b32_e32 v12, 0xcccd
	v_mov_b32_e32 v14, 5
	s_mov_b32 s4, 0xe8584caa
	v_mul_lo_u16 v13, 0xcd, v44
	s_mov_b32 s5, 0x3febb67a
	v_mul_u32_u24_sdwa v12, v41, v12 dst_sel:DWORD dst_unused:UNUSED_PAD src0_sel:WORD_0 src1_sel:DWORD
	s_mov_b32 s7, 0xbfebb67a
	s_mov_b32 s6, s4
	v_lshrrev_b16 v59, 10, v13
	v_lshrrev_b32_e32 v60, 18, v12
	v_mul_lo_u16 v12, v59, 5
	v_mul_lo_u16 v13, v60, 5
	v_sub_nc_u16 v61, v40, v12
	v_sub_nc_u16 v43, v41, v13
	v_lshlrev_b32_sdwa v18, v14, v61 dst_sel:DWORD dst_unused:UNUSED_PAD src0_sel:DWORD src1_sel:BYTE_0
	v_lshlrev_b32_sdwa v19, v14, v43 dst_sel:DWORD dst_unused:UNUSED_PAD src0_sel:DWORD src1_sel:WORD_0
	s_clause 0x3
	global_load_dwordx4 v[12:15], v18, s[8:9]
	global_load_dwordx4 v[45:48], v18, s[8:9] offset:16
	global_load_dwordx4 v[49:52], v19, s[8:9]
	global_load_dwordx4 v[53:56], v19, s[8:9] offset:16
	s_waitcnt vmcnt(0) lgkmcnt(0)
	s_barrier
	buffer_gl0_inv
	v_mul_f64 v[18:19], v[8:9], v[14:15]
	v_mul_f64 v[36:37], v[10:11], v[47:48]
	;; [unrolled: 1-line block ×8, first 2 shown]
	v_fma_f64 v[34:35], v[28:29], v[12:13], -v[18:19]
	v_fma_f64 v[30:31], v[30:31], v[45:46], -v[36:37]
	v_fma_f64 v[26:27], v[26:27], v[49:50], -v[38:39]
	v_fma_f64 v[28:29], v[32:33], v[53:54], -v[57:58]
	v_fma_f64 v[36:37], v[8:9], v[12:13], v[14:15]
	v_fma_f64 v[18:19], v[10:11], v[45:46], v[47:48]
	;; [unrolled: 1-line block ×4, first 2 shown]
	v_add_f64 v[8:9], v[24:25], v[34:35]
	v_add_f64 v[0:1], v[34:35], v[30:31]
	;; [unrolled: 1-line block ×4, first 2 shown]
	v_add_f64 v[10:11], v[36:37], -v[18:19]
	v_add_f64 v[45:46], v[8:9], v[30:31]
	v_fma_f64 v[14:15], v[0:1], -0.5, v[24:25]
	v_add_f64 v[24:25], v[38:39], -v[32:33]
	v_fma_f64 v[16:17], v[6:7], -0.5, v[16:17]
	v_add_f64 v[0:1], v[12:13], v[28:29]
	v_fma_f64 v[12:13], v[10:11], s[4:5], v[14:15]
	v_fma_f64 v[14:15], v[10:11], s[6:7], v[14:15]
	;; [unrolled: 1-line block ×4, first 2 shown]
	v_mov_b32_e32 v11, 0x78
	v_mov_b32_e32 v10, 3
	v_mul_lo_u16 v24, v60, 15
	v_mul_u32_u24_sdwa v11, v59, v11 dst_sel:DWORD dst_unused:UNUSED_PAD src0_sel:WORD_0 src1_sel:DWORD
	v_lshlrev_b32_sdwa v16, v10, v61 dst_sel:DWORD dst_unused:UNUSED_PAD src0_sel:DWORD src1_sel:BYTE_0
	v_add3_u32 v25, 0, v11, v16
	ds_write2_b64 v25, v[45:46], v[12:13] offset1:5
	ds_write_b64 v25, v[14:15] offset:80
	s_and_saveexec_b32 s1, s0
	s_cbranch_execz .LBB0_19
; %bb.18:
	v_lshlrev_b32_sdwa v11, v10, v43 dst_sel:DWORD dst_unused:UNUSED_PAD src0_sel:DWORD src1_sel:WORD_0
	v_lshlrev_b32_sdwa v10, v10, v24 dst_sel:DWORD dst_unused:UNUSED_PAD src0_sel:DWORD src1_sel:WORD_0
	v_add3_u32 v10, 0, v11, v10
	ds_write2_b64 v10, v[0:1], v[6:7] offset1:5
	ds_write_b64 v10, v[8:9] offset:80
.LBB0_19:
	s_or_b32 exec_lo, exec_lo, s1
	s_waitcnt lgkmcnt(0)
	s_barrier
	buffer_gl0_inv
	ds_read_b64 v[10:11], v42
	ds_read_b64 v[12:13], v42 offset:3240
	ds_read_b64 v[14:15], v42 offset:6480
	s_and_saveexec_b32 s1, s0
	s_cbranch_execz .LBB0_21
; %bb.20:
	ds_read_b64 v[0:1], v42 offset:1944
	ds_read_b64 v[6:7], v42 offset:5184
	;; [unrolled: 1-line block ×3, first 2 shown]
.LBB0_21:
	s_or_b32 exec_lo, exec_lo, s1
	v_add_f64 v[16:17], v[36:37], v[18:19]
	v_add_f64 v[45:46], v[38:39], v[32:33]
	;; [unrolled: 1-line block ×3, first 2 shown]
	v_add_f64 v[30:31], v[34:35], -v[30:31]
	v_add_f64 v[34:35], v[2:3], v[38:39]
	s_mov_b32 s4, 0xe8584caa
	s_mov_b32 s5, 0xbfebb67a
	;; [unrolled: 1-line block ×4, first 2 shown]
	s_waitcnt lgkmcnt(0)
	s_barrier
	buffer_gl0_inv
	v_fma_f64 v[4:5], v[16:17], -0.5, v[4:5]
	v_add_f64 v[16:17], v[26:27], -v[28:29]
	v_fma_f64 v[26:27], v[45:46], -0.5, v[2:3]
	v_add_f64 v[28:29], v[36:37], v[18:19]
	v_add_f64 v[2:3], v[34:35], v[32:33]
	v_fma_f64 v[32:33], v[30:31], s[4:5], v[4:5]
	v_fma_f64 v[4:5], v[30:31], s[6:7], v[4:5]
	;; [unrolled: 1-line block ×4, first 2 shown]
	ds_write2_b64 v25, v[28:29], v[32:33] offset1:5
	ds_write_b64 v25, v[4:5] offset:80
	s_and_saveexec_b32 s1, s0
	s_cbranch_execz .LBB0_23
; %bb.22:
	v_mov_b32_e32 v4, 3
	v_lshlrev_b32_sdwa v5, v4, v43 dst_sel:DWORD dst_unused:UNUSED_PAD src0_sel:DWORD src1_sel:WORD_0
	v_lshlrev_b32_sdwa v4, v4, v24 dst_sel:DWORD dst_unused:UNUSED_PAD src0_sel:DWORD src1_sel:WORD_0
	v_add3_u32 v4, 0, v5, v4
	ds_write2_b64 v4, v[2:3], v[18:19] offset1:5
	ds_write_b64 v4, v[16:17] offset:80
.LBB0_23:
	s_or_b32 exec_lo, exec_lo, s1
	s_waitcnt lgkmcnt(0)
	s_barrier
	buffer_gl0_inv
	ds_read_b64 v[4:5], v42
	ds_read_b64 v[32:33], v42 offset:3240
	ds_read_b64 v[34:35], v42 offset:6480
	v_lshl_add_u32 v43, v40, 3, 0
	s_and_saveexec_b32 s1, s0
	s_cbranch_execz .LBB0_25
; %bb.24:
	ds_read_b64 v[18:19], v42 offset:5184
	ds_read_b64 v[2:3], v43 offset:1944
	ds_read_b64 v[16:17], v42 offset:8424
.LBB0_25:
	s_or_b32 exec_lo, exec_lo, s1
	v_mov_b32_e32 v24, 0x8889
	v_mul_lo_u16 v25, 0x89, v44
	v_mov_b32_e32 v26, 5
	s_mov_b32 s4, 0xe8584caa
	s_mov_b32 s5, 0x3febb67a
	v_mul_u32_u24_sdwa v24, v41, v24 dst_sel:DWORD dst_unused:UNUSED_PAD src0_sel:WORD_0 src1_sel:DWORD
	v_lshrrev_b16 v39, 11, v25
	s_mov_b32 s7, 0xbfebb67a
	s_mov_b32 s6, s4
	v_lshrrev_b32_e32 v63, 19, v24
	v_mul_lo_u16 v24, v39, 15
	v_mul_lo_u16 v25, v63, 15
	v_sub_nc_u16 v64, v40, v24
	v_sub_nc_u16 v36, v41, v25
	v_lshlrev_b32_sdwa v24, v26, v64 dst_sel:DWORD dst_unused:UNUSED_PAD src0_sel:DWORD src1_sel:BYTE_0
	v_lshlrev_b32_sdwa v25, v26, v36 dst_sel:DWORD dst_unused:UNUSED_PAD src0_sel:DWORD src1_sel:WORD_0
	s_clause 0x3
	global_load_dwordx4 v[45:48], v24, s[8:9] offset:160
	global_load_dwordx4 v[49:52], v24, s[8:9] offset:176
	global_load_dwordx4 v[53:56], v25, s[8:9] offset:160
	global_load_dwordx4 v[57:60], v25, s[8:9] offset:176
	s_waitcnt vmcnt(0) lgkmcnt(0)
	s_barrier
	buffer_gl0_inv
	v_mul_f64 v[24:25], v[32:33], v[47:48]
	v_mul_f64 v[26:27], v[34:35], v[51:52]
	;; [unrolled: 1-line block ×8, first 2 shown]
	v_fma_f64 v[28:29], v[12:13], v[45:46], -v[24:25]
	v_fma_f64 v[30:31], v[14:15], v[49:50], -v[26:27]
	;; [unrolled: 1-line block ×4, first 2 shown]
	v_fma_f64 v[32:33], v[32:33], v[45:46], v[47:48]
	v_fma_f64 v[6:7], v[34:35], v[49:50], v[51:52]
	;; [unrolled: 1-line block ×4, first 2 shown]
	v_add_f64 v[14:15], v[10:11], v[28:29]
	v_add_f64 v[8:9], v[28:29], v[30:31]
	;; [unrolled: 1-line block ×4, first 2 shown]
	v_add_f64 v[16:17], v[32:33], -v[6:7]
	v_add_f64 v[45:46], v[34:35], -v[18:19]
	v_add_f64 v[14:15], v[14:15], v[30:31]
	v_fma_f64 v[8:9], v[8:9], -0.5, v[10:11]
	v_fma_f64 v[12:13], v[12:13], -0.5, v[0:1]
	v_add_f64 v[0:1], v[37:38], v[26:27]
	v_fma_f64 v[47:48], v[16:17], s[4:5], v[8:9]
	v_fma_f64 v[16:17], v[16:17], s[6:7], v[8:9]
	;; [unrolled: 1-line block ×4, first 2 shown]
	v_mov_b32_e32 v9, 0x168
	v_mov_b32_e32 v8, 3
	v_mul_u32_u24_sdwa v9, v39, v9 dst_sel:DWORD dst_unused:UNUSED_PAD src0_sel:WORD_0 src1_sel:DWORD
	v_lshlrev_b32_sdwa v37, v8, v64 dst_sel:DWORD dst_unused:UNUSED_PAD src0_sel:DWORD src1_sel:BYTE_0
	v_add3_u32 v38, 0, v9, v37
	v_mul_lo_u16 v37, v63, 45
	ds_write2_b64 v38, v[14:15], v[47:48] offset1:15
	ds_write_b64 v38, v[16:17] offset:240
	s_and_saveexec_b32 s1, s0
	s_cbranch_execz .LBB0_27
; %bb.26:
	v_lshlrev_b32_sdwa v9, v8, v36 dst_sel:DWORD dst_unused:UNUSED_PAD src0_sel:DWORD src1_sel:WORD_0
	v_lshlrev_b32_sdwa v8, v8, v37 dst_sel:DWORD dst_unused:UNUSED_PAD src0_sel:DWORD src1_sel:WORD_0
	v_add3_u32 v8, 0, v9, v8
	ds_write2_b64 v8, v[0:1], v[10:11] offset1:15
	ds_write_b64 v8, v[12:13] offset:240
.LBB0_27:
	s_or_b32 exec_lo, exec_lo, s1
	s_waitcnt lgkmcnt(0)
	s_barrier
	buffer_gl0_inv
	ds_read_b64 v[8:9], v42
	ds_read_b64 v[14:15], v42 offset:3240
	ds_read_b64 v[16:17], v42 offset:6480
	s_and_saveexec_b32 s1, s0
	s_cbranch_execz .LBB0_29
; %bb.28:
	ds_read_b64 v[10:11], v42 offset:5184
	ds_read_b64 v[0:1], v43 offset:1944
	;; [unrolled: 1-line block ×3, first 2 shown]
.LBB0_29:
	s_or_b32 exec_lo, exec_lo, s1
	v_add_f64 v[45:46], v[32:33], v[6:7]
	v_add_f64 v[47:48], v[34:35], v[18:19]
	;; [unrolled: 1-line block ×3, first 2 shown]
	v_add_f64 v[28:29], v[28:29], -v[30:31]
	v_add_f64 v[30:31], v[2:3], v[34:35]
	v_add_f64 v[24:25], v[24:25], -v[26:27]
	s_mov_b32 s4, 0xe8584caa
	s_mov_b32 s5, 0xbfebb67a
	;; [unrolled: 1-line block ×4, first 2 shown]
	s_waitcnt lgkmcnt(0)
	s_barrier
	buffer_gl0_inv
	v_fma_f64 v[4:5], v[45:46], -0.5, v[4:5]
	v_fma_f64 v[26:27], v[47:48], -0.5, v[2:3]
	v_add_f64 v[6:7], v[32:33], v[6:7]
	v_add_f64 v[2:3], v[30:31], v[18:19]
	v_fma_f64 v[30:31], v[28:29], s[4:5], v[4:5]
	v_fma_f64 v[28:29], v[28:29], s[6:7], v[4:5]
	;; [unrolled: 1-line block ×4, first 2 shown]
	ds_write2_b64 v38, v[6:7], v[30:31] offset1:15
	ds_write_b64 v38, v[28:29] offset:240
	s_and_saveexec_b32 s1, s0
	s_cbranch_execz .LBB0_31
; %bb.30:
	v_mov_b32_e32 v6, 3
	v_lshlrev_b32_sdwa v7, v6, v36 dst_sel:DWORD dst_unused:UNUSED_PAD src0_sel:DWORD src1_sel:WORD_0
	v_lshlrev_b32_sdwa v6, v6, v37 dst_sel:DWORD dst_unused:UNUSED_PAD src0_sel:DWORD src1_sel:WORD_0
	v_add3_u32 v6, 0, v7, v6
	ds_write2_b64 v6, v[2:3], v[4:5] offset1:15
	ds_write_b64 v6, v[18:19] offset:240
.LBB0_31:
	s_or_b32 exec_lo, exec_lo, s1
	s_waitcnt lgkmcnt(0)
	s_barrier
	buffer_gl0_inv
	ds_read_b64 v[6:7], v42
	ds_read_b64 v[28:29], v42 offset:3240
	ds_read_b64 v[36:37], v42 offset:6480
	s_and_saveexec_b32 s1, s0
	s_cbranch_execz .LBB0_33
; %bb.32:
	ds_read_b64 v[4:5], v42 offset:5184
	ds_read_b64 v[2:3], v43 offset:1944
	;; [unrolled: 1-line block ×3, first 2 shown]
.LBB0_33:
	s_or_b32 exec_lo, exec_lo, s1
	v_mul_lo_u16 v24, 0x6d, v44
	v_mov_b32_e32 v26, 0x2d83
	s_mov_b32 s4, 0xe8584caa
	s_mov_b32 s5, 0x3febb67a
	;; [unrolled: 1-line block ×3, first 2 shown]
	v_lshrrev_b16 v24, 8, v24
	v_mul_u32_u24_sdwa v26, v41, v26 dst_sel:DWORD dst_unused:UNUSED_PAD src0_sel:WORD_0 src1_sel:DWORD
	s_mov_b32 s6, s4
	v_sub_nc_u16 v25, v40, v24
	v_lshrrev_b32_e32 v61, 19, v26
	v_mov_b32_e32 v26, 5
	v_lshrrev_b16 v25, 1, v25
	v_and_b32_e32 v25, 0x7f, v25
	v_add_nc_u16 v24, v25, v24
	v_lshrrev_b16 v62, 5, v24
	v_mul_lo_u16 v24, v61, 45
	v_mul_lo_u16 v25, v62, 45
	v_sub_nc_u16 v44, v41, v24
	v_sub_nc_u16 v63, v40, v25
	v_lshlrev_b32_sdwa v24, v26, v44 dst_sel:DWORD dst_unused:UNUSED_PAD src0_sel:DWORD src1_sel:WORD_0
	v_lshlrev_b32_sdwa v25, v26, v63 dst_sel:DWORD dst_unused:UNUSED_PAD src0_sel:DWORD src1_sel:BYTE_0
	s_clause 0x3
	global_load_dwordx4 v[45:48], v24, s[8:9] offset:640
	global_load_dwordx4 v[49:52], v24, s[8:9] offset:656
	;; [unrolled: 1-line block ×4, first 2 shown]
	s_waitcnt vmcnt(0) lgkmcnt(0)
	s_barrier
	buffer_gl0_inv
	v_mul_f64 v[24:25], v[4:5], v[47:48]
	v_mul_f64 v[26:27], v[18:19], v[51:52]
	;; [unrolled: 1-line block ×8, first 2 shown]
	v_fma_f64 v[24:25], v[10:11], v[45:46], -v[24:25]
	v_fma_f64 v[26:27], v[12:13], v[49:50], -v[26:27]
	;; [unrolled: 1-line block ×4, first 2 shown]
	v_fma_f64 v[34:35], v[4:5], v[45:46], v[34:35]
	v_fma_f64 v[18:19], v[18:19], v[49:50], v[38:39]
	;; [unrolled: 1-line block ×4, first 2 shown]
	v_add_f64 v[12:13], v[0:1], v[24:25]
	v_add_f64 v[4:5], v[24:25], v[26:27]
	;; [unrolled: 1-line block ×4, first 2 shown]
	v_add_f64 v[14:15], v[34:35], -v[18:19]
	v_add_f64 v[36:37], v[38:39], -v[28:29]
	v_fma_f64 v[45:46], v[4:5], -0.5, v[0:1]
	v_add_f64 v[0:1], v[12:13], v[26:27]
	v_fma_f64 v[8:9], v[10:11], -0.5, v[8:9]
	v_add_f64 v[16:17], v[16:17], v[32:33]
	v_mov_b32_e32 v12, 3
	v_fma_f64 v[4:5], v[14:15], s[4:5], v[45:46]
	v_fma_f64 v[10:11], v[14:15], s[6:7], v[45:46]
	;; [unrolled: 1-line block ×4, first 2 shown]
	v_mov_b32_e32 v8, 0x438
	v_lshlrev_b32_sdwa v9, v12, v63 dst_sel:DWORD dst_unused:UNUSED_PAD src0_sel:DWORD src1_sel:BYTE_0
	v_mul_u32_u24_sdwa v8, v62, v8 dst_sel:DWORD dst_unused:UNUSED_PAD src0_sel:WORD_0 src1_sel:DWORD
	v_add3_u32 v9, 0, v8, v9
	v_mul_lo_u16 v8, 0x87, v61
	ds_write2_b64 v9, v[16:17], v[47:48] offset1:45
	ds_write_b64 v9, v[36:37] offset:720
	s_and_saveexec_b32 s1, s0
	s_cbranch_execz .LBB0_35
; %bb.34:
	v_lshlrev_b32_sdwa v13, v12, v44 dst_sel:DWORD dst_unused:UNUSED_PAD src0_sel:DWORD src1_sel:WORD_0
	v_lshlrev_b32_sdwa v12, v12, v8 dst_sel:DWORD dst_unused:UNUSED_PAD src0_sel:DWORD src1_sel:WORD_0
	v_add3_u32 v12, 0, v13, v12
	ds_write2_b64 v12, v[0:1], v[4:5] offset1:45
	ds_write_b64 v12, v[10:11] offset:720
.LBB0_35:
	s_or_b32 exec_lo, exec_lo, s1
	s_waitcnt lgkmcnt(0)
	s_barrier
	buffer_gl0_inv
	ds_read_b64 v[12:13], v42
	ds_read_b64 v[14:15], v42 offset:3240
	ds_read_b64 v[16:17], v42 offset:6480
	s_and_saveexec_b32 s1, s0
	s_cbranch_execz .LBB0_37
; %bb.36:
	ds_read_b64 v[4:5], v42 offset:5184
	ds_read_b64 v[0:1], v43 offset:1944
	;; [unrolled: 1-line block ×3, first 2 shown]
.LBB0_37:
	s_or_b32 exec_lo, exec_lo, s1
	v_add_f64 v[36:37], v[38:39], v[28:29]
	v_add_f64 v[45:46], v[34:35], v[18:19]
	;; [unrolled: 1-line block ×3, first 2 shown]
	v_add_f64 v[30:31], v[30:31], -v[32:33]
	v_add_f64 v[32:33], v[2:3], v[34:35]
	v_add_f64 v[24:25], v[24:25], -v[26:27]
	s_mov_b32 s4, 0xe8584caa
	s_mov_b32 s5, 0xbfebb67a
	;; [unrolled: 1-line block ×4, first 2 shown]
	s_waitcnt lgkmcnt(0)
	s_barrier
	buffer_gl0_inv
	v_fma_f64 v[34:35], v[36:37], -0.5, v[6:7]
	v_fma_f64 v[2:3], v[45:46], -0.5, v[2:3]
	v_add_f64 v[26:27], v[38:39], v[28:29]
	v_add_f64 v[6:7], v[32:33], v[18:19]
	v_fma_f64 v[28:29], v[30:31], s[4:5], v[34:35]
	v_fma_f64 v[18:19], v[24:25], s[4:5], v[2:3]
	;; [unrolled: 1-line block ×4, first 2 shown]
	ds_write2_b64 v9, v[26:27], v[28:29] offset1:45
	ds_write_b64 v9, v[30:31] offset:720
	s_and_saveexec_b32 s1, s0
	s_cbranch_execz .LBB0_39
; %bb.38:
	v_mov_b32_e32 v9, 3
	v_lshlrev_b32_sdwa v24, v9, v44 dst_sel:DWORD dst_unused:UNUSED_PAD src0_sel:DWORD src1_sel:WORD_0
	v_lshlrev_b32_sdwa v8, v9, v8 dst_sel:DWORD dst_unused:UNUSED_PAD src0_sel:DWORD src1_sel:WORD_0
	v_add3_u32 v8, 0, v24, v8
	ds_write2_b64 v8, v[6:7], v[18:19] offset1:45
	ds_write_b64 v8, v[2:3] offset:720
.LBB0_39:
	s_or_b32 exec_lo, exec_lo, s1
	s_waitcnt lgkmcnt(0)
	s_barrier
	buffer_gl0_inv
	ds_read_b64 v[8:9], v42
	ds_read_b64 v[24:25], v42 offset:3240
	ds_read_b64 v[26:27], v42 offset:6480
	s_and_saveexec_b32 s1, s0
	s_cbranch_execz .LBB0_41
; %bb.40:
	ds_read_b64 v[18:19], v42 offset:5184
	ds_read_b64 v[6:7], v43 offset:1944
	;; [unrolled: 1-line block ×3, first 2 shown]
.LBB0_41:
	s_or_b32 exec_lo, exec_lo, s1
	v_mov_b32_e32 v28, 0x795d
	v_add_nc_u32_e32 v29, 0xffffff79, v40
	v_cmp_gt_u32_e64 s1, 0x87, v40
	v_mov_b32_e32 v31, 5
	s_mov_b32 s4, 0xe8584caa
	v_mul_u32_u24_sdwa v28, v41, v28 dst_sel:DWORD dst_unused:UNUSED_PAD src0_sel:WORD_0 src1_sel:DWORD
	s_mov_b32 s5, 0x3febb67a
	v_cndmask_b32_e64 v39, v29, v40, s1
	v_mov_b32_e32 v29, 0
	s_mov_b32 s7, 0xbfebb67a
	v_lshrrev_b32_e32 v62, 22, v28
	s_mov_b32 s6, s4
	v_lshlrev_b32_e32 v28, 1, v39
	v_mul_lo_u16 v30, 0x87, v62
	v_lshlrev_b64 v[28:29], 4, v[28:29]
	v_sub_nc_u16 v38, v41, v30
	v_add_co_u32 v30, s1, s8, v28
	v_add_co_ci_u32_e64 v32, s1, s9, v29, s1
	v_lshlrev_b32_sdwa v31, v31, v38 dst_sel:DWORD dst_unused:UNUSED_PAD src0_sel:DWORD src1_sel:WORD_0
	v_add_co_u32 v28, s1, 0x820, v30
	v_add_co_ci_u32_e64 v29, s1, 0, v32, s1
	v_add_co_u32 v34, s1, s8, v31
	v_add_co_ci_u32_e64 v35, null, s9, 0, s1
	v_add_co_u32 v30, s1, 0x800, v30
	v_add_co_ci_u32_e64 v31, s1, 0, v32, s1
	v_add_co_u32 v32, s1, 0x800, v34
	v_add_co_ci_u32_e64 v33, s1, 0, v35, s1
	;; [unrolled: 2-line block ×3, first 2 shown]
	s_clause 0x3
	global_load_dwordx4 v[44:47], v[30:31], off offset:32
	global_load_dwordx4 v[48:51], v[28:29], off offset:16
	;; [unrolled: 1-line block ×4, first 2 shown]
	v_cmp_lt_u32_e64 s1, 0x86, v40
	s_waitcnt vmcnt(0) lgkmcnt(0)
	s_barrier
	buffer_gl0_inv
	v_mul_f64 v[28:29], v[24:25], v[46:47]
	v_mul_f64 v[30:31], v[26:27], v[50:51]
	;; [unrolled: 1-line block ×8, first 2 shown]
	v_fma_f64 v[32:33], v[14:15], v[44:45], -v[28:29]
	v_fma_f64 v[34:35], v[16:17], v[48:49], -v[30:31]
	;; [unrolled: 1-line block ×4, first 2 shown]
	v_fma_f64 v[36:37], v[24:25], v[44:45], v[46:47]
	v_fma_f64 v[10:11], v[26:27], v[48:49], v[50:51]
	;; [unrolled: 1-line block ×4, first 2 shown]
	v_add_f64 v[14:15], v[12:13], v[32:33]
	v_add_f64 v[4:5], v[32:33], v[34:35]
	;; [unrolled: 1-line block ×4, first 2 shown]
	v_add_f64 v[16:17], v[36:37], -v[10:11]
	v_add_f64 v[14:15], v[14:15], v[34:35]
	v_fma_f64 v[4:5], v[4:5], -0.5, v[12:13]
	v_add_f64 v[12:13], v[26:27], -v[24:25]
	v_fma_f64 v[44:45], v[2:3], -0.5, v[0:1]
	v_add_f64 v[0:1], v[18:19], v[30:31]
	v_fma_f64 v[18:19], v[16:17], s[4:5], v[4:5]
	v_fma_f64 v[16:17], v[16:17], s[6:7], v[4:5]
	;; [unrolled: 1-line block ×4, first 2 shown]
	v_cndmask_b32_e64 v12, 0, 0xca8, s1
	v_lshlrev_b32_e32 v13, 3, v39
	v_mul_lo_u16 v39, 0x195, v62
	v_add3_u32 v44, 0, v12, v13
	ds_write2_b64 v44, v[14:15], v[18:19] offset1:135
	ds_write_b64 v44, v[16:17] offset:2160
	s_and_saveexec_b32 s1, s0
	s_cbranch_execz .LBB0_43
; %bb.42:
	v_mov_b32_e32 v12, 3
	v_lshlrev_b32_sdwa v13, v12, v38 dst_sel:DWORD dst_unused:UNUSED_PAD src0_sel:DWORD src1_sel:WORD_0
	v_lshlrev_b32_sdwa v12, v12, v39 dst_sel:DWORD dst_unused:UNUSED_PAD src0_sel:DWORD src1_sel:WORD_0
	v_add3_u32 v12, 0, v13, v12
	ds_write2_b64 v12, v[0:1], v[2:3] offset1:135
	ds_write_b64 v12, v[4:5] offset:2160
.LBB0_43:
	s_or_b32 exec_lo, exec_lo, s1
	s_waitcnt lgkmcnt(0)
	s_barrier
	buffer_gl0_inv
	ds_read_b64 v[14:15], v42
	ds_read_b64 v[16:17], v42 offset:3240
	ds_read_b64 v[18:19], v42 offset:6480
	s_and_saveexec_b32 s1, s0
	s_cbranch_execz .LBB0_45
; %bb.44:
	ds_read_b64 v[2:3], v42 offset:5184
	ds_read_b64 v[0:1], v43 offset:1944
	;; [unrolled: 1-line block ×3, first 2 shown]
.LBB0_45:
	s_or_b32 exec_lo, exec_lo, s1
	v_add_f64 v[12:13], v[36:37], v[10:11]
	v_add_f64 v[45:46], v[26:27], v[24:25]
	;; [unrolled: 1-line block ×3, first 2 shown]
	v_add_f64 v[32:33], v[32:33], -v[34:35]
	v_add_f64 v[26:27], v[6:7], v[26:27]
	s_mov_b32 s4, 0xe8584caa
	s_mov_b32 s5, 0xbfebb67a
	;; [unrolled: 1-line block ×4, first 2 shown]
	s_waitcnt lgkmcnt(0)
	s_barrier
	buffer_gl0_inv
	v_fma_f64 v[8:9], v[12:13], -0.5, v[8:9]
	v_add_f64 v[12:13], v[28:29], -v[30:31]
	v_fma_f64 v[28:29], v[45:46], -0.5, v[6:7]
	v_add_f64 v[30:31], v[36:37], v[10:11]
	v_add_f64 v[6:7], v[26:27], v[24:25]
	v_fma_f64 v[24:25], v[32:33], s[4:5], v[8:9]
	v_fma_f64 v[8:9], v[32:33], s[6:7], v[8:9]
	;; [unrolled: 1-line block ×4, first 2 shown]
	ds_write2_b64 v44, v[30:31], v[24:25] offset1:135
	ds_write_b64 v44, v[8:9] offset:2160
	s_and_saveexec_b32 s1, s0
	s_cbranch_execz .LBB0_47
; %bb.46:
	v_mov_b32_e32 v8, 3
	v_lshlrev_b32_sdwa v9, v8, v38 dst_sel:DWORD dst_unused:UNUSED_PAD src0_sel:DWORD src1_sel:WORD_0
	v_lshlrev_b32_sdwa v8, v8, v39 dst_sel:DWORD dst_unused:UNUSED_PAD src0_sel:DWORD src1_sel:WORD_0
	v_add3_u32 v8, 0, v9, v8
	ds_write2_b64 v8, v[6:7], v[10:11] offset1:135
	ds_write_b64 v8, v[12:13] offset:2160
.LBB0_47:
	s_or_b32 exec_lo, exec_lo, s1
	s_waitcnt lgkmcnt(0)
	s_barrier
	buffer_gl0_inv
	ds_read_b64 v[24:25], v42
	ds_read_b64 v[26:27], v42 offset:3240
	ds_read_b64 v[28:29], v42 offset:6480
	s_and_saveexec_b32 s1, s0
	s_cbranch_execz .LBB0_49
; %bb.48:
	ds_read_b64 v[10:11], v42 offset:5184
	ds_read_b64 v[6:7], v43 offset:1944
	;; [unrolled: 1-line block ×3, first 2 shown]
.LBB0_49:
	s_or_b32 exec_lo, exec_lo, s1
	s_and_saveexec_b32 s1, vcc_lo
	s_cbranch_execz .LBB0_52
; %bb.50:
	v_lshlrev_b32_e32 v8, 1, v40
	v_mov_b32_e32 v9, 0
	s_mov_b32 s5, 0xbfebb67a
	v_lshlrev_b64 v[30:31], 4, v[8:9]
	v_add_co_u32 v8, vcc_lo, s8, v30
	v_add_co_ci_u32_e32 v32, vcc_lo, s9, v31, vcc_lo
	v_add_co_u32 v30, vcc_lo, 0x1800, v8
	v_add_co_ci_u32_e32 v31, vcc_lo, 0, v32, vcc_lo
	;; [unrolled: 2-line block ×3, first 2 shown]
	s_clause 0x1
	global_load_dwordx4 v[30:33], v[30:31], off offset:256
	global_load_dwordx4 v[34:37], v[34:35], off offset:16
	v_mul_lo_u32 v8, s3, v22
	s_waitcnt vmcnt(1)
	v_mul_f64 v[38:39], v[16:17], v[32:33]
	s_waitcnt vmcnt(0)
	v_mul_f64 v[42:43], v[18:19], v[36:37]
	s_waitcnt lgkmcnt(1)
	v_mul_f64 v[32:33], v[26:27], v[32:33]
	s_waitcnt lgkmcnt(0)
	v_mul_f64 v[36:37], v[28:29], v[36:37]
	v_fma_f64 v[26:27], v[26:27], v[30:31], v[38:39]
	v_fma_f64 v[28:29], v[28:29], v[34:35], v[42:43]
	v_fma_f64 v[16:17], v[16:17], v[30:31], -v[32:33]
	v_fma_f64 v[18:19], v[18:19], v[34:35], -v[36:37]
	v_mul_lo_u32 v38, s2, v23
	v_mad_u64_u32 v[22:23], null, s2, v22, 0
	v_mul_hi_u32 v39, 0x50e89cc3, v40
	s_mov_b32 s2, 0xe8584caa
	s_mov_b32 s3, 0x3febb67a
	;; [unrolled: 1-line block ×3, first 2 shown]
	v_add3_u32 v23, v23, v38, v8
	v_lshlrev_b64 v[22:23], 4, v[22:23]
	v_add_f64 v[36:37], v[24:25], v[26:27]
	v_add_f64 v[30:31], v[26:27], v[28:29]
	v_add_f64 v[26:27], v[26:27], -v[28:29]
	v_add_f64 v[32:33], v[16:17], v[18:19]
	v_add_f64 v[34:35], v[16:17], -v[18:19]
	v_add_f64 v[16:17], v[14:15], v[16:17]
	v_add_co_u32 v38, vcc_lo, s14, v22
	v_fma_f64 v[30:31], v[30:31], -0.5, v[24:25]
	v_lshrrev_b32_e32 v24, 7, v39
	v_fma_f64 v[14:15], v[32:33], -0.5, v[14:15]
	v_lshlrev_b64 v[32:33], 4, v[20:21]
	v_add_co_ci_u32_e32 v39, vcc_lo, s15, v23, vcc_lo
	v_mul_u32_u24_e32 v8, 0x195, v24
	v_add_f64 v[20:21], v[36:37], v[28:29]
	v_add_f64 v[18:19], v[16:17], v[18:19]
	v_add_co_u32 v16, vcc_lo, v38, v32
	v_sub_nc_u32_e32 v8, v40, v8
	v_add_co_ci_u32_e32 v17, vcc_lo, v39, v33, vcc_lo
	v_lshlrev_b32_e32 v8, 4, v8
	v_fma_f64 v[28:29], v[34:35], s[4:5], v[30:31]
	v_fma_f64 v[24:25], v[34:35], s[2:3], v[30:31]
	;; [unrolled: 1-line block ×4, first 2 shown]
	v_add_co_u32 v30, vcc_lo, v16, v8
	v_add_co_ci_u32_e32 v31, vcc_lo, 0, v17, vcc_lo
	v_add_nc_u32_e32 v14, 0xf3, v40
	v_add_co_u32 v32, vcc_lo, 0x1800, v30
	v_add_co_ci_u32_e32 v33, vcc_lo, 0, v31, vcc_lo
	v_add_co_u32 v34, vcc_lo, 0x3000, v30
	v_add_co_ci_u32_e32 v35, vcc_lo, 0, v31, vcc_lo
	v_cmp_gt_u32_e32 vcc_lo, 0x195, v14
	global_store_dwordx4 v[30:31], v[18:21], off
	global_store_dwordx4 v[32:33], v[26:29], off offset:336
	global_store_dwordx4 v[34:35], v[22:25], off offset:672
	s_and_b32 exec_lo, exec_lo, vcc_lo
	s_cbranch_execz .LBB0_52
; %bb.51:
	v_add_nc_u32_e32 v8, 0xffffff5e, v40
	v_cndmask_b32_e64 v8, v8, v41, s0
	v_lshlrev_b32_e32 v8, 1, v8
	v_lshlrev_b64 v[18:19], 4, v[8:9]
	v_add_co_u32 v8, vcc_lo, s8, v18
	v_add_co_ci_u32_e32 v15, vcc_lo, s9, v19, vcc_lo
	v_add_co_u32 v18, vcc_lo, 0x1800, v8
	v_add_co_ci_u32_e32 v19, vcc_lo, 0, v15, vcc_lo
	;; [unrolled: 2-line block ×3, first 2 shown]
	v_mov_b32_e32 v15, v9
	s_clause 0x1
	global_load_dwordx4 v[18:21], v[18:19], off offset:256
	global_load_dwordx4 v[22:25], v[22:23], off offset:16
	v_add_nc_u32_e32 v8, 0x288, v40
	v_lshlrev_b64 v[14:15], 4, v[14:15]
	v_add_co_u32 v14, vcc_lo, v16, v14
	v_add_co_ci_u32_e32 v15, vcc_lo, v17, v15, vcc_lo
	s_waitcnt vmcnt(1)
	v_mul_f64 v[26:27], v[10:11], v[20:21]
	s_waitcnt vmcnt(0)
	v_mul_f64 v[28:29], v[12:13], v[24:25]
	v_mul_f64 v[20:21], v[2:3], v[20:21]
	;; [unrolled: 1-line block ×3, first 2 shown]
	v_fma_f64 v[2:3], v[2:3], v[18:19], -v[26:27]
	v_fma_f64 v[4:5], v[4:5], v[22:23], -v[28:29]
	v_fma_f64 v[10:11], v[10:11], v[18:19], v[20:21]
	v_fma_f64 v[12:13], v[12:13], v[22:23], v[24:25]
	v_add_f64 v[22:23], v[0:1], v[2:3]
	v_add_f64 v[18:19], v[2:3], v[4:5]
	v_add_f64 v[26:27], v[2:3], -v[4:5]
	v_add_f64 v[20:21], v[10:11], v[12:13]
	v_add_f64 v[24:25], v[10:11], -v[12:13]
	v_add_f64 v[10:11], v[6:7], v[10:11]
	v_fma_f64 v[18:19], v[18:19], -0.5, v[0:1]
	v_add_f64 v[0:1], v[22:23], v[4:5]
	v_fma_f64 v[20:21], v[20:21], -0.5, v[6:7]
	v_add_f64 v[2:3], v[10:11], v[12:13]
	v_fma_f64 v[4:5], v[24:25], s[2:3], v[18:19]
	v_fma_f64 v[10:11], v[24:25], s[4:5], v[18:19]
	;; [unrolled: 1-line block ×4, first 2 shown]
	v_lshlrev_b64 v[18:19], 4, v[8:9]
	v_add_nc_u32_e32 v8, 0x41d, v40
	v_lshlrev_b64 v[8:9], 4, v[8:9]
	v_add_co_u32 v18, vcc_lo, v16, v18
	v_add_co_ci_u32_e32 v19, vcc_lo, v17, v19, vcc_lo
	v_add_co_u32 v8, vcc_lo, v16, v8
	v_add_co_ci_u32_e32 v9, vcc_lo, v17, v9, vcc_lo
	global_store_dwordx4 v[14:15], v[0:3], off
	global_store_dwordx4 v[18:19], v[4:7], off
	;; [unrolled: 1-line block ×3, first 2 shown]
.LBB0_52:
	s_endpgm
	.section	.rodata,"a",@progbits
	.p2align	6, 0x0
	.amdhsa_kernel fft_rtc_fwd_len1215_factors_5_3_3_3_3_3_wgs_243_tpt_243_halfLds_dp_op_CI_CI_unitstride_sbrr_dirReg
		.amdhsa_group_segment_fixed_size 0
		.amdhsa_private_segment_fixed_size 0
		.amdhsa_kernarg_size 104
		.amdhsa_user_sgpr_count 6
		.amdhsa_user_sgpr_private_segment_buffer 1
		.amdhsa_user_sgpr_dispatch_ptr 0
		.amdhsa_user_sgpr_queue_ptr 0
		.amdhsa_user_sgpr_kernarg_segment_ptr 1
		.amdhsa_user_sgpr_dispatch_id 0
		.amdhsa_user_sgpr_flat_scratch_init 0
		.amdhsa_user_sgpr_private_segment_size 0
		.amdhsa_wavefront_size32 1
		.amdhsa_uses_dynamic_stack 0
		.amdhsa_system_sgpr_private_segment_wavefront_offset 0
		.amdhsa_system_sgpr_workgroup_id_x 1
		.amdhsa_system_sgpr_workgroup_id_y 0
		.amdhsa_system_sgpr_workgroup_id_z 0
		.amdhsa_system_sgpr_workgroup_info 0
		.amdhsa_system_vgpr_workitem_id 0
		.amdhsa_next_free_vgpr 65
		.amdhsa_next_free_sgpr 27
		.amdhsa_reserve_vcc 1
		.amdhsa_reserve_flat_scratch 0
		.amdhsa_float_round_mode_32 0
		.amdhsa_float_round_mode_16_64 0
		.amdhsa_float_denorm_mode_32 3
		.amdhsa_float_denorm_mode_16_64 3
		.amdhsa_dx10_clamp 1
		.amdhsa_ieee_mode 1
		.amdhsa_fp16_overflow 0
		.amdhsa_workgroup_processor_mode 1
		.amdhsa_memory_ordered 1
		.amdhsa_forward_progress 0
		.amdhsa_shared_vgpr_count 0
		.amdhsa_exception_fp_ieee_invalid_op 0
		.amdhsa_exception_fp_denorm_src 0
		.amdhsa_exception_fp_ieee_div_zero 0
		.amdhsa_exception_fp_ieee_overflow 0
		.amdhsa_exception_fp_ieee_underflow 0
		.amdhsa_exception_fp_ieee_inexact 0
		.amdhsa_exception_int_div_zero 0
	.end_amdhsa_kernel
	.text
.Lfunc_end0:
	.size	fft_rtc_fwd_len1215_factors_5_3_3_3_3_3_wgs_243_tpt_243_halfLds_dp_op_CI_CI_unitstride_sbrr_dirReg, .Lfunc_end0-fft_rtc_fwd_len1215_factors_5_3_3_3_3_3_wgs_243_tpt_243_halfLds_dp_op_CI_CI_unitstride_sbrr_dirReg
                                        ; -- End function
	.section	.AMDGPU.csdata,"",@progbits
; Kernel info:
; codeLenInByte = 6936
; NumSgprs: 29
; NumVgprs: 65
; ScratchSize: 0
; MemoryBound: 1
; FloatMode: 240
; IeeeMode: 1
; LDSByteSize: 0 bytes/workgroup (compile time only)
; SGPRBlocks: 3
; VGPRBlocks: 8
; NumSGPRsForWavesPerEU: 29
; NumVGPRsForWavesPerEU: 65
; Occupancy: 12
; WaveLimiterHint : 1
; COMPUTE_PGM_RSRC2:SCRATCH_EN: 0
; COMPUTE_PGM_RSRC2:USER_SGPR: 6
; COMPUTE_PGM_RSRC2:TRAP_HANDLER: 0
; COMPUTE_PGM_RSRC2:TGID_X_EN: 1
; COMPUTE_PGM_RSRC2:TGID_Y_EN: 0
; COMPUTE_PGM_RSRC2:TGID_Z_EN: 0
; COMPUTE_PGM_RSRC2:TIDIG_COMP_CNT: 0
	.text
	.p2alignl 6, 3214868480
	.fill 48, 4, 3214868480
	.type	__hip_cuid_b0f2dd4014c752f7,@object ; @__hip_cuid_b0f2dd4014c752f7
	.section	.bss,"aw",@nobits
	.globl	__hip_cuid_b0f2dd4014c752f7
__hip_cuid_b0f2dd4014c752f7:
	.byte	0                               ; 0x0
	.size	__hip_cuid_b0f2dd4014c752f7, 1

	.ident	"AMD clang version 19.0.0git (https://github.com/RadeonOpenCompute/llvm-project roc-6.4.0 25133 c7fe45cf4b819c5991fe208aaa96edf142730f1d)"
	.section	".note.GNU-stack","",@progbits
	.addrsig
	.addrsig_sym __hip_cuid_b0f2dd4014c752f7
	.amdgpu_metadata
---
amdhsa.kernels:
  - .args:
      - .actual_access:  read_only
        .address_space:  global
        .offset:         0
        .size:           8
        .value_kind:     global_buffer
      - .offset:         8
        .size:           8
        .value_kind:     by_value
      - .actual_access:  read_only
        .address_space:  global
        .offset:         16
        .size:           8
        .value_kind:     global_buffer
      - .actual_access:  read_only
        .address_space:  global
        .offset:         24
        .size:           8
        .value_kind:     global_buffer
      - .actual_access:  read_only
        .address_space:  global
        .offset:         32
        .size:           8
        .value_kind:     global_buffer
      - .offset:         40
        .size:           8
        .value_kind:     by_value
      - .actual_access:  read_only
        .address_space:  global
        .offset:         48
        .size:           8
        .value_kind:     global_buffer
      - .actual_access:  read_only
        .address_space:  global
        .offset:         56
        .size:           8
        .value_kind:     global_buffer
      - .offset:         64
        .size:           4
        .value_kind:     by_value
      - .actual_access:  read_only
        .address_space:  global
        .offset:         72
        .size:           8
        .value_kind:     global_buffer
      - .actual_access:  read_only
        .address_space:  global
        .offset:         80
        .size:           8
        .value_kind:     global_buffer
      - .actual_access:  read_only
        .address_space:  global
        .offset:         88
        .size:           8
        .value_kind:     global_buffer
      - .actual_access:  write_only
        .address_space:  global
        .offset:         96
        .size:           8
        .value_kind:     global_buffer
    .group_segment_fixed_size: 0
    .kernarg_segment_align: 8
    .kernarg_segment_size: 104
    .language:       OpenCL C
    .language_version:
      - 2
      - 0
    .max_flat_workgroup_size: 243
    .name:           fft_rtc_fwd_len1215_factors_5_3_3_3_3_3_wgs_243_tpt_243_halfLds_dp_op_CI_CI_unitstride_sbrr_dirReg
    .private_segment_fixed_size: 0
    .sgpr_count:     29
    .sgpr_spill_count: 0
    .symbol:         fft_rtc_fwd_len1215_factors_5_3_3_3_3_3_wgs_243_tpt_243_halfLds_dp_op_CI_CI_unitstride_sbrr_dirReg.kd
    .uniform_work_group_size: 1
    .uses_dynamic_stack: false
    .vgpr_count:     65
    .vgpr_spill_count: 0
    .wavefront_size: 32
    .workgroup_processor_mode: 1
amdhsa.target:   amdgcn-amd-amdhsa--gfx1030
amdhsa.version:
  - 1
  - 2
...

	.end_amdgpu_metadata
